;; amdgpu-corpus repo=ROCm/rocFFT kind=compiled arch=gfx1201 opt=O3
	.text
	.amdgcn_target "amdgcn-amd-amdhsa--gfx1201"
	.amdhsa_code_object_version 6
	.protected	fft_rtc_fwd_len1274_factors_2_13_7_7_wgs_182_tpt_182_halfLds_half_ip_CI_unitstride_sbrr_dirReg ; -- Begin function fft_rtc_fwd_len1274_factors_2_13_7_7_wgs_182_tpt_182_halfLds_half_ip_CI_unitstride_sbrr_dirReg
	.globl	fft_rtc_fwd_len1274_factors_2_13_7_7_wgs_182_tpt_182_halfLds_half_ip_CI_unitstride_sbrr_dirReg
	.p2align	8
	.type	fft_rtc_fwd_len1274_factors_2_13_7_7_wgs_182_tpt_182_halfLds_half_ip_CI_unitstride_sbrr_dirReg,@function
fft_rtc_fwd_len1274_factors_2_13_7_7_wgs_182_tpt_182_halfLds_half_ip_CI_unitstride_sbrr_dirReg: ; @fft_rtc_fwd_len1274_factors_2_13_7_7_wgs_182_tpt_182_halfLds_half_ip_CI_unitstride_sbrr_dirReg
; %bb.0:
	s_clause 0x2
	s_load_b128 s[4:7], s[0:1], 0x0
	s_load_b64 s[8:9], s[0:1], 0x50
	s_load_b64 s[10:11], s[0:1], 0x18
	v_mul_u32_u24_e32 v1, 0x169, v0
	v_mov_b32_e32 v3, 0
	s_delay_alu instid0(VALU_DEP_2) | instskip(NEXT) | instid1(VALU_DEP_1)
	v_lshrrev_b32_e32 v1, 16, v1
	v_add_nc_u32_e32 v5, ttmp9, v1
	v_mov_b32_e32 v1, 0
	v_mov_b32_e32 v2, 0
	;; [unrolled: 1-line block ×3, first 2 shown]
	s_wait_kmcnt 0x0
	v_cmp_lt_u64_e64 s2, s[6:7], 2
	s_delay_alu instid0(VALU_DEP_1)
	s_and_b32 vcc_lo, exec_lo, s2
	s_cbranch_vccnz .LBB0_8
; %bb.1:
	s_load_b64 s[2:3], s[0:1], 0x10
	v_mov_b32_e32 v1, 0
	v_mov_b32_e32 v2, 0
	s_add_nc_u64 s[12:13], s[10:11], 8
	s_mov_b64 s[14:15], 1
	s_wait_kmcnt 0x0
	s_add_nc_u64 s[16:17], s[2:3], 8
	s_mov_b32 s3, 0
.LBB0_2:                                ; =>This Inner Loop Header: Depth=1
	s_load_b64 s[18:19], s[16:17], 0x0
                                        ; implicit-def: $vgpr7_vgpr8
	s_mov_b32 s2, exec_lo
	s_wait_kmcnt 0x0
	v_or_b32_e32 v4, s19, v6
	s_delay_alu instid0(VALU_DEP_1)
	v_cmpx_ne_u64_e32 0, v[3:4]
	s_wait_alu 0xfffe
	s_xor_b32 s20, exec_lo, s2
	s_cbranch_execz .LBB0_4
; %bb.3:                                ;   in Loop: Header=BB0_2 Depth=1
	s_cvt_f32_u32 s2, s18
	s_cvt_f32_u32 s21, s19
	s_sub_nc_u64 s[24:25], 0, s[18:19]
	s_wait_alu 0xfffe
	s_delay_alu instid0(SALU_CYCLE_1) | instskip(SKIP_1) | instid1(SALU_CYCLE_2)
	s_fmamk_f32 s2, s21, 0x4f800000, s2
	s_wait_alu 0xfffe
	v_s_rcp_f32 s2, s2
	s_delay_alu instid0(TRANS32_DEP_1) | instskip(SKIP_1) | instid1(SALU_CYCLE_2)
	s_mul_f32 s2, s2, 0x5f7ffffc
	s_wait_alu 0xfffe
	s_mul_f32 s21, s2, 0x2f800000
	s_wait_alu 0xfffe
	s_delay_alu instid0(SALU_CYCLE_2) | instskip(SKIP_1) | instid1(SALU_CYCLE_2)
	s_trunc_f32 s21, s21
	s_wait_alu 0xfffe
	s_fmamk_f32 s2, s21, 0xcf800000, s2
	s_cvt_u32_f32 s23, s21
	s_wait_alu 0xfffe
	s_delay_alu instid0(SALU_CYCLE_1) | instskip(SKIP_1) | instid1(SALU_CYCLE_2)
	s_cvt_u32_f32 s22, s2
	s_wait_alu 0xfffe
	s_mul_u64 s[26:27], s[24:25], s[22:23]
	s_wait_alu 0xfffe
	s_mul_hi_u32 s29, s22, s27
	s_mul_i32 s28, s22, s27
	s_mul_hi_u32 s2, s22, s26
	s_mul_i32 s30, s23, s26
	s_wait_alu 0xfffe
	s_add_nc_u64 s[28:29], s[2:3], s[28:29]
	s_mul_hi_u32 s21, s23, s26
	s_mul_hi_u32 s31, s23, s27
	s_add_co_u32 s2, s28, s30
	s_wait_alu 0xfffe
	s_add_co_ci_u32 s2, s29, s21
	s_mul_i32 s26, s23, s27
	s_add_co_ci_u32 s27, s31, 0
	s_wait_alu 0xfffe
	s_add_nc_u64 s[26:27], s[2:3], s[26:27]
	s_wait_alu 0xfffe
	v_add_co_u32 v4, s2, s22, s26
	s_delay_alu instid0(VALU_DEP_1) | instskip(SKIP_1) | instid1(VALU_DEP_1)
	s_cmp_lg_u32 s2, 0
	s_add_co_ci_u32 s23, s23, s27
	v_readfirstlane_b32 s22, v4
	s_wait_alu 0xfffe
	s_delay_alu instid0(VALU_DEP_1)
	s_mul_u64 s[24:25], s[24:25], s[22:23]
	s_wait_alu 0xfffe
	s_mul_hi_u32 s27, s22, s25
	s_mul_i32 s26, s22, s25
	s_mul_hi_u32 s2, s22, s24
	s_mul_i32 s28, s23, s24
	s_wait_alu 0xfffe
	s_add_nc_u64 s[26:27], s[2:3], s[26:27]
	s_mul_hi_u32 s21, s23, s24
	s_mul_hi_u32 s22, s23, s25
	s_wait_alu 0xfffe
	s_add_co_u32 s2, s26, s28
	s_add_co_ci_u32 s2, s27, s21
	s_mul_i32 s24, s23, s25
	s_add_co_ci_u32 s25, s22, 0
	s_wait_alu 0xfffe
	s_add_nc_u64 s[24:25], s[2:3], s[24:25]
	s_wait_alu 0xfffe
	v_add_co_u32 v4, s2, v4, s24
	s_delay_alu instid0(VALU_DEP_1) | instskip(SKIP_1) | instid1(VALU_DEP_1)
	s_cmp_lg_u32 s2, 0
	s_add_co_ci_u32 s2, s23, s25
	v_mul_hi_u32 v13, v5, v4
	s_wait_alu 0xfffe
	v_mad_co_u64_u32 v[7:8], null, v5, s2, 0
	v_mad_co_u64_u32 v[9:10], null, v6, v4, 0
	;; [unrolled: 1-line block ×3, first 2 shown]
	s_delay_alu instid0(VALU_DEP_3) | instskip(SKIP_1) | instid1(VALU_DEP_4)
	v_add_co_u32 v4, vcc_lo, v13, v7
	s_wait_alu 0xfffd
	v_add_co_ci_u32_e32 v7, vcc_lo, 0, v8, vcc_lo
	s_delay_alu instid0(VALU_DEP_2) | instskip(SKIP_1) | instid1(VALU_DEP_2)
	v_add_co_u32 v4, vcc_lo, v4, v9
	s_wait_alu 0xfffd
	v_add_co_ci_u32_e32 v4, vcc_lo, v7, v10, vcc_lo
	s_wait_alu 0xfffd
	v_add_co_ci_u32_e32 v7, vcc_lo, 0, v12, vcc_lo
	s_delay_alu instid0(VALU_DEP_2) | instskip(SKIP_1) | instid1(VALU_DEP_2)
	v_add_co_u32 v4, vcc_lo, v4, v11
	s_wait_alu 0xfffd
	v_add_co_ci_u32_e32 v9, vcc_lo, 0, v7, vcc_lo
	s_delay_alu instid0(VALU_DEP_2) | instskip(SKIP_1) | instid1(VALU_DEP_3)
	v_mul_lo_u32 v10, s19, v4
	v_mad_co_u64_u32 v[7:8], null, s18, v4, 0
	v_mul_lo_u32 v11, s18, v9
	s_delay_alu instid0(VALU_DEP_2) | instskip(NEXT) | instid1(VALU_DEP_2)
	v_sub_co_u32 v7, vcc_lo, v5, v7
	v_add3_u32 v8, v8, v11, v10
	s_delay_alu instid0(VALU_DEP_1) | instskip(SKIP_1) | instid1(VALU_DEP_1)
	v_sub_nc_u32_e32 v10, v6, v8
	s_wait_alu 0xfffd
	v_subrev_co_ci_u32_e64 v10, s2, s19, v10, vcc_lo
	v_add_co_u32 v11, s2, v4, 2
	s_wait_alu 0xf1ff
	v_add_co_ci_u32_e64 v12, s2, 0, v9, s2
	v_sub_co_u32 v13, s2, v7, s18
	v_sub_co_ci_u32_e32 v8, vcc_lo, v6, v8, vcc_lo
	s_wait_alu 0xf1ff
	v_subrev_co_ci_u32_e64 v10, s2, 0, v10, s2
	s_delay_alu instid0(VALU_DEP_3) | instskip(NEXT) | instid1(VALU_DEP_3)
	v_cmp_le_u32_e32 vcc_lo, s18, v13
	v_cmp_eq_u32_e64 s2, s19, v8
	s_wait_alu 0xfffd
	v_cndmask_b32_e64 v13, 0, -1, vcc_lo
	v_cmp_le_u32_e32 vcc_lo, s19, v10
	s_wait_alu 0xfffd
	v_cndmask_b32_e64 v14, 0, -1, vcc_lo
	v_cmp_le_u32_e32 vcc_lo, s18, v7
	;; [unrolled: 3-line block ×3, first 2 shown]
	s_wait_alu 0xfffd
	v_cndmask_b32_e64 v15, 0, -1, vcc_lo
	v_cmp_eq_u32_e32 vcc_lo, s19, v10
	s_wait_alu 0xf1ff
	s_delay_alu instid0(VALU_DEP_2)
	v_cndmask_b32_e64 v7, v15, v7, s2
	s_wait_alu 0xfffd
	v_cndmask_b32_e32 v10, v14, v13, vcc_lo
	v_add_co_u32 v13, vcc_lo, v4, 1
	s_wait_alu 0xfffd
	v_add_co_ci_u32_e32 v14, vcc_lo, 0, v9, vcc_lo
	s_delay_alu instid0(VALU_DEP_3) | instskip(SKIP_2) | instid1(VALU_DEP_3)
	v_cmp_ne_u32_e32 vcc_lo, 0, v10
	s_wait_alu 0xfffd
	v_cndmask_b32_e32 v10, v13, v11, vcc_lo
	v_cndmask_b32_e32 v8, v14, v12, vcc_lo
	v_cmp_ne_u32_e32 vcc_lo, 0, v7
	s_wait_alu 0xfffd
	s_delay_alu instid0(VALU_DEP_2)
	v_dual_cndmask_b32 v7, v4, v10 :: v_dual_cndmask_b32 v8, v9, v8
.LBB0_4:                                ;   in Loop: Header=BB0_2 Depth=1
	s_wait_alu 0xfffe
	s_and_not1_saveexec_b32 s2, s20
	s_cbranch_execz .LBB0_6
; %bb.5:                                ;   in Loop: Header=BB0_2 Depth=1
	v_cvt_f32_u32_e32 v4, s18
	s_sub_co_i32 s20, 0, s18
	s_delay_alu instid0(VALU_DEP_1) | instskip(NEXT) | instid1(TRANS32_DEP_1)
	v_rcp_iflag_f32_e32 v4, v4
	v_mul_f32_e32 v4, 0x4f7ffffe, v4
	s_delay_alu instid0(VALU_DEP_1) | instskip(SKIP_1) | instid1(VALU_DEP_1)
	v_cvt_u32_f32_e32 v4, v4
	s_wait_alu 0xfffe
	v_mul_lo_u32 v7, s20, v4
	s_delay_alu instid0(VALU_DEP_1) | instskip(NEXT) | instid1(VALU_DEP_1)
	v_mul_hi_u32 v7, v4, v7
	v_add_nc_u32_e32 v4, v4, v7
	s_delay_alu instid0(VALU_DEP_1) | instskip(NEXT) | instid1(VALU_DEP_1)
	v_mul_hi_u32 v4, v5, v4
	v_mul_lo_u32 v7, v4, s18
	v_add_nc_u32_e32 v8, 1, v4
	s_delay_alu instid0(VALU_DEP_2) | instskip(NEXT) | instid1(VALU_DEP_1)
	v_sub_nc_u32_e32 v7, v5, v7
	v_subrev_nc_u32_e32 v9, s18, v7
	v_cmp_le_u32_e32 vcc_lo, s18, v7
	s_wait_alu 0xfffd
	s_delay_alu instid0(VALU_DEP_2) | instskip(NEXT) | instid1(VALU_DEP_1)
	v_dual_cndmask_b32 v7, v7, v9 :: v_dual_cndmask_b32 v4, v4, v8
	v_cmp_le_u32_e32 vcc_lo, s18, v7
	s_delay_alu instid0(VALU_DEP_2) | instskip(SKIP_1) | instid1(VALU_DEP_1)
	v_add_nc_u32_e32 v8, 1, v4
	s_wait_alu 0xfffd
	v_dual_cndmask_b32 v7, v4, v8 :: v_dual_mov_b32 v8, v3
.LBB0_6:                                ;   in Loop: Header=BB0_2 Depth=1
	s_wait_alu 0xfffe
	s_or_b32 exec_lo, exec_lo, s2
	s_load_b64 s[20:21], s[12:13], 0x0
	s_delay_alu instid0(VALU_DEP_1)
	v_mul_lo_u32 v4, v8, s18
	v_mul_lo_u32 v11, v7, s19
	v_mad_co_u64_u32 v[9:10], null, v7, s18, 0
	s_add_nc_u64 s[14:15], s[14:15], 1
	s_add_nc_u64 s[12:13], s[12:13], 8
	s_wait_alu 0xfffe
	v_cmp_ge_u64_e64 s2, s[14:15], s[6:7]
	s_add_nc_u64 s[16:17], s[16:17], 8
	s_delay_alu instid0(VALU_DEP_2) | instskip(NEXT) | instid1(VALU_DEP_3)
	v_add3_u32 v4, v10, v11, v4
	v_sub_co_u32 v5, vcc_lo, v5, v9
	s_wait_alu 0xfffd
	s_delay_alu instid0(VALU_DEP_2) | instskip(SKIP_3) | instid1(VALU_DEP_2)
	v_sub_co_ci_u32_e32 v4, vcc_lo, v6, v4, vcc_lo
	s_and_b32 vcc_lo, exec_lo, s2
	s_wait_kmcnt 0x0
	v_mul_lo_u32 v6, s21, v5
	v_mul_lo_u32 v4, s20, v4
	v_mad_co_u64_u32 v[1:2], null, s20, v5, v[1:2]
	s_delay_alu instid0(VALU_DEP_1)
	v_add3_u32 v2, v6, v2, v4
	s_wait_alu 0xfffe
	s_cbranch_vccnz .LBB0_9
; %bb.7:                                ;   in Loop: Header=BB0_2 Depth=1
	v_dual_mov_b32 v5, v7 :: v_dual_mov_b32 v6, v8
	s_branch .LBB0_2
.LBB0_8:
	v_dual_mov_b32 v8, v6 :: v_dual_mov_b32 v7, v5
.LBB0_9:
	s_lshl_b64 s[2:3], s[6:7], 3
	v_mul_hi_u32 v3, 0x1681682, v0
	s_wait_alu 0xfffe
	s_add_nc_u64 s[2:3], s[10:11], s[2:3]
                                        ; implicit-def: $vgpr14
                                        ; implicit-def: $vgpr13
                                        ; implicit-def: $vgpr12
                                        ; implicit-def: $vgpr18
                                        ; implicit-def: $vgpr17
                                        ; implicit-def: $vgpr10
                                        ; implicit-def: $vgpr16
                                        ; implicit-def: $vgpr20
                                        ; implicit-def: $vgpr21
                                        ; implicit-def: $vgpr11
                                        ; implicit-def: $vgpr15
	s_load_b64 s[2:3], s[2:3], 0x0
	s_load_b64 s[0:1], s[0:1], 0x20
	s_wait_kmcnt 0x0
	v_mul_lo_u32 v6, s2, v8
	v_mul_lo_u32 v9, s3, v7
	v_mad_co_u64_u32 v[4:5], null, s2, v7, v[1:2]
	v_mul_u32_u24_e32 v1, 0xb6, v3
	v_cmp_gt_u64_e32 vcc_lo, s[0:1], v[7:8]
	v_dual_mov_b32 v7, 0 :: v_dual_mov_b32 v2, 0
                                        ; implicit-def: $vgpr8
	s_delay_alu instid0(VALU_DEP_3) | instskip(SKIP_1) | instid1(VALU_DEP_1)
	v_sub_nc_u32_e32 v3, v0, v1
	v_add3_u32 v5, v9, v5, v6
                                        ; implicit-def: $vgpr6
                                        ; implicit-def: $vgpr9
	v_lshlrev_b64_e32 v[0:1], 2, v[4:5]
	v_mov_b32_e32 v4, 0
	s_and_saveexec_b32 s1, vcc_lo
	s_cbranch_execz .LBB0_13
; %bb.10:
	v_mov_b32_e32 v4, 0
	s_delay_alu instid0(VALU_DEP_3) | instskip(SKIP_2) | instid1(VALU_DEP_3)
	v_add_co_u32 v2, s0, s8, v0
	s_wait_alu 0xf1ff
	v_add_co_ci_u32_e64 v7, s0, s9, v1, s0
	v_lshlrev_b64_e32 v[5:6], 2, v[3:4]
	s_mov_b32 s2, exec_lo
                                        ; implicit-def: $vgpr15
                                        ; implicit-def: $vgpr9
	s_delay_alu instid0(VALU_DEP_1) | instskip(SKIP_1) | instid1(VALU_DEP_2)
	v_add_co_u32 v5, s0, v2, v5
	s_wait_alu 0xf1ff
	v_add_co_ci_u32_e64 v6, s0, v7, v6, s0
	v_mov_b32_e32 v7, v4
	s_clause 0x5
	global_load_b32 v14, v[5:6], off
	global_load_b32 v18, v[5:6], off offset:728
	global_load_b32 v10, v[5:6], off offset:3276
	;; [unrolled: 1-line block ×5, first 2 shown]
	v_cmpx_gt_u32_e32 0x5b, v3
	s_cbranch_execz .LBB0_12
; %bb.11:
	s_clause 0x1
	global_load_b32 v4, v[5:6], off offset:2184
	global_load_b32 v15, v[5:6], off offset:4732
	s_wait_loadcnt 0x1
	v_lshrrev_b32_e32 v7, 16, v4
	s_wait_loadcnt 0x0
	v_lshrrev_b32_e32 v9, 16, v15
.LBB0_12:
	s_wait_alu 0xfffe
	s_or_b32 exec_lo, exec_lo, s2
	s_wait_loadcnt 0x5
	v_lshrrev_b32_e32 v6, 16, v14
	s_wait_loadcnt 0x1
	v_lshrrev_b32_e32 v13, 16, v8
	v_lshrrev_b32_e32 v12, 16, v18
	;; [unrolled: 1-line block ×3, first 2 shown]
	s_wait_loadcnt 0x0
	v_lshrrev_b32_e32 v16, 16, v20
	v_lshrrev_b32_e32 v21, 16, v11
	v_mov_b32_e32 v2, v3
.LBB0_13:
	s_wait_alu 0xfffe
	s_or_b32 exec_lo, exec_lo, s1
	v_sub_f16_e32 v8, v14, v8
	v_sub_f16_e32 v10, v18, v10
	;; [unrolled: 1-line block ×4, first 2 shown]
	v_lshl_add_u32 v23, v3, 2, 0
	v_fma_f16 v5, v14, 2.0, -v8
	v_fma_f16 v19, v18, 2.0, -v10
	;; [unrolled: 1-line block ×3, first 2 shown]
	v_add_nc_u32_e32 v20, 0x222, v3
	v_fma_f16 v18, v4, 2.0, -v15
	v_lshlrev_b32_e32 v4, 1, v3
	v_pack_b32_f16 v22, v5, v8
	v_pack_b32_f16 v24, v19, v10
	v_cmp_gt_u32_e64 s1, 0x5b, v3
	v_lshl_add_u32 v31, v20, 2, 0
	v_pack_b32_f16 v25, v14, v11
	ds_store_2addr_b32 v23, v22, v24 offset1:182
	ds_store_b32 v23, v25 offset:1456
	s_and_saveexec_b32 s0, s1
	s_cbranch_execz .LBB0_15
; %bb.14:
	v_perm_b32 v20, v15, v18, 0x5040100
	ds_store_b32 v31, v20
.LBB0_15:
	s_wait_alu 0xfffe
	s_or_b32 exec_lo, exec_lo, s0
	v_add_nc_u32_e32 v32, 0x2d8, v23
	v_add_nc_u32_e32 v33, 0x5b0, v23
	v_cmp_gt_u32_e64 s0, 0x62, v3
	v_sub_nc_u32_e32 v4, v23, v4
	global_wb scope:SCOPE_SE
	s_wait_dscnt 0x0
	s_barrier_signal -1
	s_barrier_wait -1
	global_inv scope:SCOPE_SE
                                        ; implicit-def: $vgpr22
                                        ; implicit-def: $vgpr24
                                        ; implicit-def: $vgpr25
                                        ; implicit-def: $vgpr20
                                        ; implicit-def: $vgpr26
	s_and_saveexec_b32 s2, s0
	s_cbranch_execz .LBB0_17
; %bb.16:
	ds_load_u16 v5, v4
	ds_load_u16 v8, v4 offset:196
	ds_load_u16 v19, v4 offset:392
	;; [unrolled: 1-line block ×12, first 2 shown]
.LBB0_17:
	s_wait_alu 0xfffe
	s_or_b32 exec_lo, exec_lo, s2
	v_sub_f16_e32 v29, v6, v13
	v_sub_f16_e32 v30, v12, v17
	;; [unrolled: 1-line block ×4, first 2 shown]
	global_wb scope:SCOPE_SE
	s_wait_dscnt 0x0
	v_fma_f16 v9, v6, 2.0, -v29
	v_fma_f16 v38, v12, 2.0, -v30
	;; [unrolled: 1-line block ×4, first 2 shown]
	s_barrier_signal -1
	v_pack_b32_f16 v6, v9, v29
	v_pack_b32_f16 v12, v38, v30
	;; [unrolled: 1-line block ×3, first 2 shown]
	s_barrier_wait -1
	global_inv scope:SCOPE_SE
	ds_store_b32 v23, v6
	ds_store_b32 v32, v12
	ds_store_b32 v33, v13
	s_and_saveexec_b32 s2, s1
	s_cbranch_execz .LBB0_19
; %bb.18:
	v_perm_b32 v6, v27, v39, 0x5040100
	ds_store_b32 v31, v6
.LBB0_19:
	s_wait_alu 0xfffe
	s_or_b32 exec_lo, exec_lo, s2
	global_wb scope:SCOPE_SE
	s_wait_dscnt 0x0
	s_barrier_signal -1
	s_barrier_wait -1
	global_inv scope:SCOPE_SE
                                        ; implicit-def: $vgpr40
                                        ; implicit-def: $vgpr41
                                        ; implicit-def: $vgpr42
                                        ; implicit-def: $vgpr43
                                        ; implicit-def: $vgpr44
	s_and_saveexec_b32 s1, s0
	s_cbranch_execz .LBB0_21
; %bb.20:
	ds_load_u16 v9, v4
	ds_load_u16 v29, v4 offset:196
	ds_load_u16 v38, v4 offset:392
	;; [unrolled: 1-line block ×12, first 2 shown]
.LBB0_21:
	s_wait_alu 0xfffe
	s_or_b32 exec_lo, exec_lo, s1
	v_and_b32_e32 v4, 1, v3
	s_delay_alu instid0(VALU_DEP_1) | instskip(NEXT) | instid1(VALU_DEP_1)
	v_mul_u32_u24_e32 v6, 12, v4
	v_lshlrev_b32_e32 v6, 2, v6
	s_clause 0x2
	global_load_b128 v[45:48], v6, s[4:5]
	global_load_b128 v[49:52], v6, s[4:5] offset:16
	global_load_b128 v[53:56], v6, s[4:5] offset:32
	global_wb scope:SCOPE_SE
	s_wait_loadcnt_dscnt 0x0
	s_barrier_signal -1
	s_barrier_wait -1
	global_inv scope:SCOPE_SE
	v_lshrrev_b32_e32 v6, 16, v45
	v_lshrrev_b32_e32 v7, 16, v46
	;; [unrolled: 1-line block ×12, first 2 shown]
	v_mul_f16_e32 v59, v29, v6
	v_mul_f16_e32 v34, v8, v6
	v_mul_f16_e32 v60, v38, v7
	v_mul_f16_e32 v33, v19, v7
	v_mul_f16_e32 v61, v30, v12
	v_mul_f16_e32 v21, v10, v12
	v_mul_f16_e32 v62, v36, v13
	v_mul_f16_e32 v16, v14, v13
	v_mul_f16_e32 v63, v28, v17
	v_mul_f16_e32 v12, v11, v17
	v_mul_f16_e32 v64, v39, v23
	v_mul_f16_e32 v6, v18, v23
	v_mul_f16_e32 v65, v27, v31
	v_mul_f16_e32 v7, v15, v31
	v_mul_f16_e32 v66, v44, v32
	v_mul_f16_e32 v13, v26, v32
	v_mul_f16_e32 v67, v43, v35
	v_mul_f16_e32 v17, v20, v35
	v_mul_f16_e32 v68, v42, v37
	v_mul_f16_e32 v23, v25, v37
	v_mul_f16_e32 v69, v41, v57
	v_mul_f16_e32 v31, v24, v57
	v_mul_f16_e32 v57, v40, v58
	v_mul_f16_e32 v32, v22, v58
	v_fma_f16 v37, v8, v45, -v59
	v_fmac_f16_e32 v34, v29, v45
	v_fma_f16 v35, v19, v46, -v60
	v_fmac_f16_e32 v33, v38, v46
	;; [unrolled: 2-line block ×12, first 2 shown]
	v_lshrrev_b32_e32 v8, 1, v3
	s_and_saveexec_b32 s1, s0
	s_cbranch_execz .LBB0_23
; %bb.22:
	s_delay_alu instid0(VALU_DEP_2)
	v_sub_f16_e32 v24, v34, v32
	v_add_f16_e32 v22, v37, v38
	v_sub_f16_e32 v26, v33, v31
	v_add_f16_e32 v25, v35, v36
	v_sub_f16_e32 v28, v21, v23
	v_mul_f16_e32 v45, 0xb3a8, v24
	v_add_f16_e32 v27, v29, v30
	v_mul_f16_e32 v46, 0x3770, v26
	v_sub_f16_e32 v40, v16, v17
	v_mul_f16_e32 v47, 0xb94e, v28
	v_fmamk_f16 v54, v22, 0xbbc4, v45
	v_fma_f16 v45, v22, 0xbbc4, -v45
	v_fmamk_f16 v55, v25, 0x3b15, v46
	v_fma_f16 v46, v25, 0x3b15, -v46
	v_add_f16_e32 v39, v19, v20
	v_sub_f16_e32 v42, v12, v13
	v_add_f16_e32 v45, v5, v45
	v_mul_f16_e32 v48, 0x3a95, v40
	v_fmamk_f16 v56, v27, 0xb9fd, v47
	v_add_f16_e32 v54, v5, v54
	v_fma_f16 v47, v27, 0xb9fd, -v47
	v_add_f16_e32 v45, v46, v45
	v_add_f16_e32 v41, v14, v15
	v_mul_f16_e32 v49, 0xbb7b, v42
	v_mul_f16_e32 v51, 0xb94e, v24
	v_fmamk_f16 v57, v39, 0x388b, v48
	v_add_f16_e32 v54, v55, v54
	v_fma_f16 v48, v39, 0x388b, -v48
	v_add_f16_e32 v45, v47, v45
	v_sub_f16_e32 v44, v6, v7
	v_mul_f16_e32 v52, 0x3bf1, v26
	v_fmamk_f16 v58, v41, 0xb5ac, v49
	v_add_f16_e32 v46, v56, v54
	v_fmamk_f16 v54, v22, 0xb9fd, v51
	v_fma_f16 v49, v41, 0xb5ac, -v49
	v_add_f16_e32 v45, v48, v45
	v_add_f16_e32 v43, v10, v11
	v_mul_f16_e32 v50, 0x3bf1, v44
	v_mul_f16_e32 v53, 0xba95, v28
	v_fmamk_f16 v55, v25, 0x2fb7, v52
	v_add_f16_e32 v47, v5, v54
	v_add_f16_e32 v45, v49, v45
	v_fma_f16 v49, v22, 0xb9fd, -v51
	v_fmamk_f16 v59, v43, 0x2fb7, v50
	v_fmamk_f16 v48, v27, 0x388b, v53
	v_add_f16_e32 v47, v55, v47
	v_mul_f16_e32 v54, 0x33a8, v40
	v_fma_f16 v50, v43, 0x2fb7, -v50
	v_add_f16_e32 v49, v5, v49
	v_fma_f16 v52, v25, 0x2fb7, -v52
	v_add_f16_e32 v47, v48, v47
	v_fmamk_f16 v48, v39, 0xbbc4, v54
	v_mul_f16_e32 v51, 0x3770, v42
	v_add_f16_e32 v45, v50, v45
	v_add_f16_e32 v49, v52, v49
	v_fma_f16 v50, v27, 0x388b, -v53
	v_add_f16_e32 v47, v48, v47
	v_fmamk_f16 v48, v41, 0x3b15, v51
	v_mul_f16_e32 v55, 0xbb7b, v24
	v_mul_f16_e32 v52, 0x394e, v26
	v_add_f16_e32 v49, v50, v49
	v_fma_f16 v50, v39, 0xbbc4, -v54
	v_add_f16_e32 v47, v48, v47
	v_fmamk_f16 v48, v22, 0xb5ac, v55
	v_fmamk_f16 v54, v25, 0xb9fd, v52
	v_mul_f16_e32 v56, 0x3770, v28
	v_add_f16_e32 v49, v50, v49
	v_fma_f16 v50, v41, 0x3b15, -v51
	v_add_f16_e32 v48, v5, v48
	v_mul_f16_e32 v53, 0xbb7b, v44
	v_fmamk_f16 v51, v27, 0x3b15, v56
	v_fma_f16 v52, v25, 0xb9fd, -v52
	v_add_f16_e32 v49, v50, v49
	v_fma_f16 v50, v22, 0xb5ac, -v55
	v_add_f16_e32 v48, v54, v48
	v_mul_f16_e32 v54, 0xbbf1, v40
	v_add_f16_e32 v46, v57, v46
	v_fmamk_f16 v57, v43, 0xb5ac, v53
	v_add_f16_e32 v50, v5, v50
	v_add_f16_e32 v48, v51, v48
	v_fmamk_f16 v51, v39, 0x2fb7, v54
	v_mul_f16_e32 v55, 0x33a8, v42
	v_add_f16_e32 v47, v57, v47
	v_add_f16_e32 v50, v52, v50
	v_fma_f16 v52, v27, 0x3b15, -v56
	v_fma_f16 v53, v43, 0xb5ac, -v53
	v_add_f16_e32 v48, v51, v48
	v_fmamk_f16 v51, v41, 0xbbc4, v55
	v_mul_f16_e32 v57, 0xbbf1, v24
	v_add_f16_e32 v50, v52, v50
	v_fma_f16 v52, v39, 0x2fb7, -v54
	v_add_f16_e32 v49, v53, v49
	v_add_f16_e32 v48, v51, v48
	v_fmamk_f16 v51, v22, 0x2fb7, v57
	v_mul_f16_e32 v53, 0xb3a8, v26
	v_add_f16_e32 v50, v52, v50
	v_fma_f16 v52, v41, 0xbbc4, -v55
	v_add_f16_e32 v46, v58, v46
	v_add_f16_e32 v51, v5, v51
	v_fmamk_f16 v54, v25, 0xbbc4, v53
	v_mul_f16_e32 v58, 0x3b7b, v28
	v_add_f16_e32 v50, v52, v50
	v_fma_f16 v52, v22, 0x2fb7, -v57
	v_mul_f16_e32 v55, 0x3770, v40
	v_add_f16_e32 v51, v54, v51
	v_fmamk_f16 v54, v27, 0xb5ac, v58
	v_fma_f16 v53, v25, 0xbbc4, -v53
	v_add_f16_e32 v52, v5, v52
	v_add_f16_e32 v18, v5, v37
	v_mul_f16_e32 v56, 0x3a95, v44
	v_add_f16_e32 v51, v54, v51
	v_fmamk_f16 v54, v39, 0x3b15, v55
	v_mul_f16_e32 v57, 0xba95, v42
	v_add_f16_e32 v52, v53, v52
	v_fma_f16 v53, v27, 0xb5ac, -v58
	v_add_f16_e32 v18, v18, v35
	v_add_f16_e32 v46, v59, v46
	v_fmamk_f16 v59, v43, 0x388b, v56
	v_fma_f16 v56, v43, 0x388b, -v56
	v_add_f16_e32 v51, v54, v51
	v_fmamk_f16 v54, v41, 0x388b, v57
	v_add_f16_e32 v52, v53, v52
	v_fma_f16 v53, v39, 0x3b15, -v55
	v_add_f16_e32 v18, v18, v29
	v_add_f16_e32 v50, v56, v50
	v_mul_f16_e32 v56, 0xba95, v24
	v_add_f16_e32 v51, v54, v51
	v_mul_f16_e32 v54, 0xb94e, v44
	v_add_f16_e32 v52, v53, v52
	v_fma_f16 v53, v41, 0x388b, -v57
	v_add_f16_e32 v18, v18, v19
	v_add_f16_e32 v48, v59, v48
	v_fmamk_f16 v58, v22, 0x388b, v56
	v_mul_f16_e32 v59, 0xbb7b, v26
	v_fmamk_f16 v55, v43, 0xb9fd, v54
	v_add_f16_e32 v52, v53, v52
	v_fma_f16 v53, v43, 0xb9fd, -v54
	v_fma_f16 v54, v22, 0x388b, -v56
	v_add_f16_e32 v18, v18, v14
	v_add_f16_e32 v58, v5, v58
	v_fmamk_f16 v60, v25, 0xb5ac, v59
	v_mul_f16_e32 v61, 0xb3a8, v28
	v_add_f16_e32 v52, v53, v52
	v_add_f16_e32 v53, v5, v54
	v_fma_f16 v54, v25, 0xb5ac, -v59
	v_mul_f16_e32 v24, 0xb770, v24
	v_add_f16_e32 v18, v18, v10
	v_add_f16_e32 v51, v55, v51
	;; [unrolled: 1-line block ×3, first 2 shown]
	v_mul_f16_e32 v58, 0x394e, v40
	v_add_f16_e32 v53, v54, v53
	v_fma_f16 v54, v27, 0xbbc4, -v61
	v_fma_f16 v60, v22, 0x3b15, -v24
	v_mul_f16_e32 v26, 0xba95, v26
	v_add_f16_e32 v18, v18, v11
	v_fmamk_f16 v56, v39, 0xb9fd, v58
	v_add_f16_e32 v53, v54, v53
	v_fma_f16 v54, v39, 0xb9fd, -v58
	v_fmamk_f16 v22, v22, 0x3b15, v24
	v_add_f16_e32 v24, v5, v60
	v_fma_f16 v58, v25, 0x388b, -v26
	v_mul_f16_e32 v28, 0xbbf1, v28
	v_add_f16_e32 v18, v18, v15
	v_add_f16_e32 v5, v5, v22
	v_fmamk_f16 v22, v25, 0x388b, v26
	v_add_f16_e32 v24, v58, v24
	v_fma_f16 v25, v27, 0x2fb7, -v28
	v_mul_f16_e32 v26, 0xbb7b, v40
	v_fmamk_f16 v57, v27, 0xbbc4, v61
	v_add_f16_e32 v18, v18, v20
	v_add_f16_e32 v5, v22, v5
	v_fmamk_f16 v22, v27, 0x2fb7, v28
	v_add_f16_e32 v24, v25, v24
	v_fma_f16 v25, v39, 0xb5ac, -v26
	v_mul_f16_e32 v27, 0xb94e, v42
	v_add_f16_e32 v55, v57, v55
	v_mul_f16_e32 v57, 0x3bf1, v42
	v_add_f16_e32 v18, v18, v30
	v_add_f16_e32 v5, v22, v5
	v_fmamk_f16 v22, v39, 0xb5ac, v26
	v_add_f16_e32 v24, v25, v24
	v_fma_f16 v25, v41, 0xb9fd, -v27
	v_mul_u32_u24_e32 v26, 26, v8
	v_mul_f16_e32 v39, 0xb3a8, v44
	v_mul_f16_e32 v59, 0x3770, v44
	v_add_f16_e32 v53, v54, v53
	v_fma_f16 v40, v41, 0x2fb7, -v57
	v_add_f16_e32 v18, v18, v36
	v_add_f16_e32 v55, v56, v55
	v_fmamk_f16 v56, v41, 0x2fb7, v57
	v_add_f16_e32 v5, v22, v5
	v_fmamk_f16 v22, v41, 0xb9fd, v27
	v_add_f16_e32 v24, v25, v24
	v_or_b32_e32 v25, v26, v4
	v_fma_f16 v26, v43, 0xbbc4, -v39
	v_add_f16_e32 v28, v40, v53
	v_fma_f16 v27, v43, 0x3b15, -v59
	v_add_f16_e32 v18, v18, v38
	v_add_f16_e32 v55, v56, v55
	v_fmamk_f16 v56, v43, 0x3b15, v59
	v_add_f16_e32 v5, v22, v5
	v_fmamk_f16 v22, v43, 0xbbc4, v39
	v_lshl_add_u32 v25, v25, 1, 0
	v_add_f16_e32 v24, v26, v24
	v_add_f16_e32 v26, v27, v28
	;; [unrolled: 1-line block ×4, first 2 shown]
	ds_store_b16 v25, v18
	ds_store_b16 v25, v24 offset:4
	ds_store_b16 v25, v26 offset:8
	;; [unrolled: 1-line block ×12, first 2 shown]
.LBB0_23:
	s_wait_alu 0xfffe
	s_or_b32 exec_lo, exec_lo, s1
	v_lshl_add_u32 v5, v3, 1, 0
	global_wb scope:SCOPE_SE
	s_wait_dscnt 0x0
	s_barrier_signal -1
	s_barrier_wait -1
	global_inv scope:SCOPE_SE
	ds_load_u16 v18, v5
	ds_load_u16 v28, v5 offset:364
	ds_load_u16 v27, v5 offset:728
	;; [unrolled: 1-line block ×6, first 2 shown]
	global_wb scope:SCOPE_SE
	s_wait_dscnt 0x0
	s_barrier_signal -1
	s_barrier_wait -1
	global_inv scope:SCOPE_SE
	s_and_saveexec_b32 s1, s0
	s_cbranch_execz .LBB0_25
; %bb.24:
	v_add_f16_e32 v39, v9, v34
	v_sub_f16_e32 v37, v37, v38
	v_add_f16_e32 v38, v33, v31
	v_add_f16_e32 v34, v34, v32
	v_sub_f16_e32 v35, v35, v36
	v_add_f16_e32 v33, v39, v33
	v_mul_f16_e32 v36, 0xb770, v37
	v_mul_f16_e32 v39, 0xba95, v37
	;; [unrolled: 1-line block ×4, first 2 shown]
	v_add_f16_e32 v33, v33, v21
	v_mul_f16_e32 v42, 0xb94e, v37
	v_mul_f16_e32 v37, 0xb3a8, v37
	;; [unrolled: 1-line block ×4, first 2 shown]
	v_add_f16_e32 v33, v33, v16
	v_fmamk_f16 v47, v34, 0x3b15, v36
	v_fma_f16 v36, v34, 0x3b15, -v36
	v_fmamk_f16 v48, v34, 0x388b, v39
	v_fma_f16 v39, v34, 0x388b, -v39
	v_add_f16_e32 v33, v33, v12
	v_mul_f16_e32 v45, 0xb3a8, v35
	v_mul_f16_e32 v46, 0x394e, v35
	v_fmamk_f16 v49, v34, 0x2fb7, v40
	v_fma_f16 v40, v34, 0x2fb7, -v40
	v_add_f16_e32 v33, v33, v6
	v_fmamk_f16 v50, v34, 0xb5ac, v41
	v_fma_f16 v41, v34, 0xb5ac, -v41
	v_fmamk_f16 v51, v34, 0xb9fd, v42
	v_fma_f16 v42, v34, 0xb9fd, -v42
	v_add_f16_e32 v33, v33, v7
	v_fmamk_f16 v52, v34, 0xbbc4, v37
	v_fma_f16 v34, v34, 0xbbc4, -v37
	;; [unrolled: 5-line block ×3, first 2 shown]
	v_add_f16_e32 v47, v9, v47
	v_add_f16_e32 v36, v9, v36
	;; [unrolled: 1-line block ×17, first 2 shown]
	v_fmamk_f16 v37, v38, 0xbbc4, v45
	v_add_f16_e32 v39, v44, v39
	v_fma_f16 v43, v38, 0xbbc4, -v45
	v_fmamk_f16 v44, v38, 0xb9fd, v46
	v_fma_f16 v45, v38, 0xb9fd, -v46
	v_mul_f16_e32 v46, 0x3bf1, v35
	v_sub_f16_e32 v29, v29, v30
	v_add_f16_e32 v40, v43, v40
	v_add_f16_e32 v43, v44, v50
	v_mul_f16_e32 v35, 0x3770, v35
	v_fma_f16 v44, v38, 0x2fb7, -v46
	v_add_f16_e32 v21, v21, v23
	v_mul_f16_e32 v23, 0xbbf1, v29
	v_add_f16_e32 v41, v45, v41
	v_fmamk_f16 v30, v38, 0x2fb7, v46
	v_fmamk_f16 v45, v38, 0x3b15, v35
	v_fma_f16 v35, v38, 0x3b15, -v35
	v_add_f16_e32 v38, v44, v42
	v_fmamk_f16 v42, v21, 0x2fb7, v23
	v_mul_f16_e32 v44, 0xb3a8, v29
	v_add_f16_e32 v31, v31, v32
	v_add_f16_e32 v32, v53, v48
	;; [unrolled: 1-line block ×4, first 2 shown]
	v_fmamk_f16 v35, v21, 0xbbc4, v44
	v_mul_f16_e32 v42, 0x3b7b, v29
	v_add_f16_e32 v37, v37, v49
	v_fma_f16 v23, v21, 0x2fb7, -v23
	v_sub_f16_e32 v19, v19, v20
	v_add_f16_e32 v32, v35, v32
	v_fmamk_f16 v35, v21, 0xb5ac, v42
	v_add_f16_e32 v30, v30, v51
	v_fma_f16 v44, v21, 0xbbc4, -v44
	v_add_f16_e32 v23, v23, v36
	v_mul_f16_e32 v36, 0x3770, v29
	v_add_f16_e32 v35, v35, v37
	v_mul_f16_e32 v37, 0xba95, v29
	v_mul_f16_e32 v29, 0xb94e, v29
	v_add_f16_e32 v16, v16, v17
	v_mul_f16_e32 v17, 0xbb7b, v19
	v_add_f16_e32 v33, v45, v33
	v_fmamk_f16 v20, v21, 0x388b, v37
	v_fma_f16 v37, v21, 0x388b, -v37
	v_add_f16_e32 v39, v44, v39
	v_fma_f16 v42, v21, 0xb5ac, -v42
	v_fmamk_f16 v44, v21, 0x3b15, v36
	v_fma_f16 v36, v21, 0x3b15, -v36
	v_add_f16_e32 v20, v20, v30
	v_fmamk_f16 v30, v21, 0xb9fd, v29
	v_add_f16_e32 v37, v37, v38
	v_fma_f16 v21, v21, 0xb9fd, -v29
	v_fmamk_f16 v29, v16, 0xb5ac, v17
	v_mul_f16_e32 v38, 0x394e, v19
	v_add_f16_e32 v30, v30, v33
	v_mul_f16_e32 v33, 0x3770, v19
	v_add_f16_e32 v9, v21, v9
	v_add_f16_e32 v21, v29, v34
	v_fmamk_f16 v29, v16, 0xb9fd, v38
	v_fma_f16 v17, v16, 0xb5ac, -v17
	v_mul_f16_e32 v34, 0xbbf1, v19
	v_sub_f16_e32 v14, v14, v15
	v_add_f16_e32 v36, v36, v41
	v_add_f16_e32 v29, v29, v32
	v_fmamk_f16 v32, v16, 0x3b15, v33
	v_add_f16_e32 v17, v17, v23
	v_fma_f16 v23, v16, 0xb9fd, -v38
	v_fmamk_f16 v38, v16, 0x2fb7, v34
	v_fma_f16 v34, v16, 0x2fb7, -v34
	v_add_f16_e32 v32, v32, v35
	v_mul_f16_e32 v35, 0x33a8, v19
	v_mul_f16_e32 v15, 0x3a95, v19
	v_add_f16_e32 v12, v12, v13
	v_mul_f16_e32 v13, 0xb94e, v14
	v_fma_f16 v33, v16, 0x3b15, -v33
	v_add_f16_e32 v34, v34, v36
	v_fmamk_f16 v19, v16, 0xbbc4, v35
	v_fma_f16 v35, v16, 0xbbc4, -v35
	v_fmamk_f16 v36, v16, 0x388b, v15
	v_fma_f16 v15, v16, 0x388b, -v15
	v_fmamk_f16 v16, v12, 0xb9fd, v13
	v_add_f16_e32 v40, v42, v40
	v_add_f16_e32 v19, v19, v20
	;; [unrolled: 1-line block ×3, first 2 shown]
	v_mul_f16_e32 v35, 0x3bf1, v14
	v_fma_f16 v13, v12, 0xb9fd, -v13
	v_add_f16_e32 v9, v15, v9
	v_add_f16_e32 v15, v16, v21
	v_mul_f16_e32 v16, 0xba95, v14
	v_add_f16_e32 v33, v33, v40
	v_add_f16_e32 v30, v36, v30
	v_fmamk_f16 v21, v12, 0x2fb7, v35
	v_add_f16_e32 v13, v13, v17
	v_fma_f16 v17, v12, 0x2fb7, -v35
	v_mul_f16_e32 v35, 0x33a8, v14
	v_fmamk_f16 v36, v12, 0x388b, v16
	v_fma_f16 v16, v12, 0x388b, -v16
	v_add_f16_e32 v23, v23, v39
	v_add_f16_e32 v21, v21, v29
	v_sub_f16_e32 v10, v10, v11
	v_add_f16_e32 v29, v36, v32
	v_fma_f16 v32, v12, 0xbbc4, -v35
	v_add_f16_e32 v16, v16, v33
	v_mul_f16_e32 v33, 0x3770, v14
	v_mul_f16_e32 v14, 0xbb7b, v14
	v_add_f16_e32 v17, v17, v23
	v_fmamk_f16 v23, v12, 0xbbc4, v35
	v_add_f16_e32 v32, v32, v34
	v_fmamk_f16 v11, v12, 0x3b15, v33
	v_fma_f16 v33, v12, 0x3b15, -v33
	v_fmamk_f16 v34, v12, 0xb5ac, v14
	v_add_f16_e32 v6, v6, v7
	v_mul_f16_e32 v7, 0xb3a8, v10
	v_fma_f16 v12, v12, 0xb5ac, -v14
	v_add_f16_e32 v42, v44, v43
	v_add_f16_e32 v11, v11, v19
	;; [unrolled: 1-line block ×4, first 2 shown]
	v_fmamk_f16 v20, v6, 0xbbc4, v7
	v_fma_f16 v7, v6, 0xbbc4, -v7
	v_mul_f16_e32 v30, 0x3770, v10
	v_add_f16_e32 v9, v12, v9
	v_mul_f16_e32 v12, 0xb94e, v10
	v_add_f16_e32 v38, v38, v42
	v_add_f16_e32 v15, v20, v15
	;; [unrolled: 1-line block ×3, first 2 shown]
	v_fmamk_f16 v13, v6, 0x3b15, v30
	v_fma_f16 v20, v6, 0x3b15, -v30
	v_fmamk_f16 v30, v6, 0xb9fd, v12
	v_mul_f16_e32 v33, 0x3a95, v10
	v_mul_u32_u24_e32 v8, 26, v8
	v_add_f16_e32 v23, v23, v38
	v_fma_f16 v12, v6, 0xb9fd, -v12
	v_add_f16_e32 v13, v13, v21
	v_add_f16_e32 v17, v20, v17
	;; [unrolled: 1-line block ×3, first 2 shown]
	v_fmamk_f16 v21, v6, 0x388b, v33
	v_mul_f16_e32 v29, 0xbb7b, v10
	v_mul_f16_e32 v10, 0x3bf1, v10
	v_or_b32_e32 v4, v8, v4
	v_add_f16_e32 v12, v12, v16
	v_fma_f16 v16, v6, 0x388b, -v33
	v_add_f16_e32 v21, v21, v23
	v_fmamk_f16 v8, v6, 0xb5ac, v29
	v_fma_f16 v23, v6, 0xb5ac, -v29
	v_fmamk_f16 v29, v6, 0x2fb7, v10
	v_fma_f16 v6, v6, 0x2fb7, -v10
	v_lshl_add_u32 v4, v4, 1, 0
	v_add_f16_e32 v16, v16, v32
	v_add_f16_e32 v8, v8, v11
	;; [unrolled: 1-line block ×5, first 2 shown]
	ds_store_b16 v4, v31
	ds_store_b16 v4, v15 offset:4
	ds_store_b16 v4, v13 offset:8
	;; [unrolled: 1-line block ×12, first 2 shown]
.LBB0_25:
	s_wait_alu 0xfffe
	s_or_b32 exec_lo, exec_lo, s1
	v_and_b32_e32 v4, 0xff, v3
	global_wb scope:SCOPE_SE
	s_wait_dscnt 0x0
	s_barrier_signal -1
	s_barrier_wait -1
	global_inv scope:SCOPE_SE
	v_mul_lo_u16 v4, 0x4f, v4
	s_delay_alu instid0(VALU_DEP_1) | instskip(NEXT) | instid1(VALU_DEP_1)
	v_lshrrev_b16 v4, 11, v4
	v_mul_lo_u16 v6, v4, 26
	v_and_b32_e32 v4, 0xffff, v4
	s_delay_alu instid0(VALU_DEP_2) | instskip(NEXT) | instid1(VALU_DEP_2)
	v_sub_nc_u16 v6, v3, v6
	v_mul_u32_u24_e32 v4, 0x16c, v4
	s_delay_alu instid0(VALU_DEP_2) | instskip(NEXT) | instid1(VALU_DEP_1)
	v_and_b32_e32 v12, 0xff, v6
	v_mul_u32_u24_e32 v6, 6, v12
	v_lshlrev_b32_e32 v12, 1, v12
	s_delay_alu instid0(VALU_DEP_2) | instskip(NEXT) | instid1(VALU_DEP_2)
	v_lshlrev_b32_e32 v10, 2, v6
	v_add3_u32 v12, 0, v4, v12
	s_clause 0x1
	global_load_b128 v[6:9], v10, s[4:5] offset:96
	global_load_b64 v[10:11], v10, s[4:5] offset:112
	ds_load_u16 v13, v5 offset:364
	ds_load_u16 v14, v5 offset:728
	;; [unrolled: 1-line block ×3, first 2 shown]
	ds_load_u16 v16, v5
	ds_load_u16 v17, v5 offset:1456
	ds_load_u16 v19, v5 offset:1820
	;; [unrolled: 1-line block ×3, first 2 shown]
	global_wb scope:SCOPE_SE
	s_wait_loadcnt_dscnt 0x0
	s_barrier_signal -1
	s_barrier_wait -1
	global_inv scope:SCOPE_SE
	v_lshrrev_b32_e32 v4, 16, v6
	v_lshrrev_b32_e32 v21, 16, v7
	;; [unrolled: 1-line block ×6, first 2 shown]
	v_mul_f16_e32 v32, v13, v4
	v_mul_f16_e32 v4, v28, v4
	v_mul_f16_e32 v33, v14, v21
	v_mul_f16_e32 v21, v27, v21
	v_mul_f16_e32 v34, v15, v23
	v_mul_f16_e32 v23, v25, v23
	v_mul_f16_e32 v35, v17, v29
	v_mul_f16_e32 v29, v24, v29
	v_mul_f16_e32 v36, v19, v30
	v_mul_f16_e32 v37, v20, v31
	v_mul_f16_e32 v30, v22, v30
	v_mul_f16_e32 v31, v26, v31
	v_fma_f16 v28, v28, v6, -v32
	v_fmac_f16_e32 v4, v13, v6
	v_fma_f16 v6, v27, v7, -v33
	v_fmac_f16_e32 v21, v14, v7
	;; [unrolled: 2-line block ×3, first 2 shown]
	v_fma_f16 v8, v24, v9, -v35
	v_fma_f16 v13, v26, v11, -v37
	v_fmac_f16_e32 v29, v17, v9
	v_fma_f16 v9, v22, v10, -v36
	v_fmac_f16_e32 v31, v20, v11
	v_fmac_f16_e32 v30, v19, v10
	v_add_f16_e32 v10, v28, v13
	v_sub_f16_e32 v13, v28, v13
	v_add_f16_e32 v14, v6, v9
	v_add_f16_e32 v11, v4, v31
	v_sub_f16_e32 v4, v4, v31
	v_add_f16_e32 v15, v21, v30
	v_sub_f16_e32 v6, v6, v9
	v_sub_f16_e32 v9, v21, v30
	v_add_f16_e32 v17, v7, v8
	v_add_f16_e32 v19, v23, v29
	v_sub_f16_e32 v7, v8, v7
	v_sub_f16_e32 v8, v29, v23
	v_add_f16_e32 v20, v14, v10
	v_add_f16_e32 v21, v15, v11
	v_sub_f16_e32 v22, v14, v10
	v_sub_f16_e32 v23, v15, v11
	;; [unrolled: 1-line block ×6, first 2 shown]
	v_add_f16_e32 v24, v7, v6
	v_add_f16_e32 v25, v8, v9
	v_sub_f16_e32 v26, v7, v6
	v_sub_f16_e32 v27, v8, v9
	;; [unrolled: 1-line block ×4, first 2 shown]
	v_add_f16_e32 v17, v17, v20
	v_sub_f16_e32 v7, v13, v7
	v_sub_f16_e32 v8, v4, v8
	v_add_f16_e32 v19, v19, v21
	v_add_f16_e32 v13, v24, v13
	;; [unrolled: 1-line block ×3, first 2 shown]
	v_mul_f16_e32 v10, 0x3a52, v10
	v_mul_f16_e32 v11, 0x3a52, v11
	;; [unrolled: 1-line block ×8, first 2 shown]
	v_add_f16_e32 v18, v18, v17
	v_add_f16_e32 v16, v16, v19
	v_fmamk_f16 v14, v14, 0x2b26, v10
	v_fmamk_f16 v15, v15, 0x2b26, v11
	v_fma_f16 v20, v22, 0x39e0, -v20
	v_fma_f16 v21, v23, 0x39e0, -v21
	;; [unrolled: 1-line block ×4, first 2 shown]
	v_fmamk_f16 v22, v7, 0x3574, v24
	v_fmamk_f16 v23, v8, 0x3574, v25
	v_fma_f16 v24, v6, 0x3b00, -v24
	v_fma_f16 v6, v9, 0x3b00, -v25
	;; [unrolled: 1-line block ×4, first 2 shown]
	v_fmamk_f16 v8, v17, 0xbcab, v18
	v_fmamk_f16 v9, v19, 0xbcab, v16
	v_fmac_f16_e32 v23, 0x370e, v4
	v_fmac_f16_e32 v6, 0x370e, v4
	;; [unrolled: 1-line block ×3, first 2 shown]
	v_add_f16_e32 v4, v14, v8
	v_add_f16_e32 v14, v20, v8
	;; [unrolled: 1-line block ×3, first 2 shown]
	v_fmac_f16_e32 v22, 0x370e, v13
	v_fmac_f16_e32 v24, 0x370e, v13
	;; [unrolled: 1-line block ×3, first 2 shown]
	v_add_f16_e32 v13, v15, v9
	v_add_f16_e32 v15, v11, v9
	v_add_f16_e32 v17, v21, v9
	v_add_f16_e32 v9, v23, v4
	v_add_f16_e32 v10, v7, v8
	v_sub_f16_e32 v11, v14, v6
	v_add_f16_e32 v6, v6, v14
	v_sub_f16_e32 v7, v8, v7
	v_sub_f16_e32 v4, v4, v23
	ds_store_b16 v12, v18
	ds_store_b16 v12, v9 offset:52
	ds_store_b16 v12, v10 offset:104
	;; [unrolled: 1-line block ×6, first 2 shown]
	global_wb scope:SCOPE_SE
	s_wait_dscnt 0x0
	s_barrier_signal -1
	s_barrier_wait -1
	global_inv scope:SCOPE_SE
	ds_load_u16 v4, v5
	ds_load_u16 v9, v5 offset:364
	ds_load_u16 v6, v5 offset:728
	;; [unrolled: 1-line block ×6, first 2 shown]
	v_sub_f16_e32 v19, v13, v22
	v_sub_f16_e32 v20, v15, v25
	v_add_f16_e32 v14, v24, v17
	v_sub_f16_e32 v17, v17, v24
	v_add_f16_e32 v15, v25, v15
	v_add_f16_e32 v13, v22, v13
	global_wb scope:SCOPE_SE
	s_wait_dscnt 0x0
	s_barrier_signal -1
	s_barrier_wait -1
	global_inv scope:SCOPE_SE
	ds_store_b16 v12, v16
	ds_store_b16 v12, v19 offset:52
	ds_store_b16 v12, v20 offset:104
	;; [unrolled: 1-line block ×6, first 2 shown]
	global_wb scope:SCOPE_SE
	s_wait_dscnt 0x0
	s_barrier_signal -1
	s_barrier_wait -1
	global_inv scope:SCOPE_SE
	s_and_saveexec_b32 s0, vcc_lo
	s_cbranch_execz .LBB0_27
; %bb.26:
	v_mul_u32_u24_e32 v3, 6, v3
	v_add_co_u32 v0, vcc_lo, s8, v0
	s_wait_alu 0xfffd
	v_add_co_ci_u32_e32 v1, vcc_lo, s9, v1, vcc_lo
	s_delay_alu instid0(VALU_DEP_3)
	v_lshlrev_b32_e32 v3, 2, v3
	s_clause 0x1
	global_load_b128 v[12:15], v3, s[4:5] offset:720
	global_load_b64 v[16:17], v3, s[4:5] offset:736
	ds_load_u16 v18, v5 offset:364
	ds_load_u16 v19, v5 offset:2184
	;; [unrolled: 1-line block ×6, first 2 shown]
	v_mov_b32_e32 v3, 0
	ds_load_u16 v5, v5
	v_lshlrev_b64_e32 v[2:3], 2, v[2:3]
	s_delay_alu instid0(VALU_DEP_1) | instskip(SKIP_1) | instid1(VALU_DEP_2)
	v_add_co_u32 v0, vcc_lo, v0, v2
	s_wait_alu 0xfffd
	v_add_co_ci_u32_e32 v1, vcc_lo, v1, v3, vcc_lo
	s_wait_loadcnt 0x1
	v_lshrrev_b32_e32 v2, 16, v12
	v_lshrrev_b32_e32 v3, 16, v13
	s_wait_loadcnt 0x0
	v_lshrrev_b32_e32 v24, 16, v17
	v_lshrrev_b32_e32 v27, 16, v16
	;; [unrolled: 1-line block ×4, first 2 shown]
	s_wait_dscnt 0x6
	v_mul_f16_e32 v28, v18, v2
	s_wait_dscnt 0x5
	v_mul_f16_e32 v29, v19, v24
	;; [unrolled: 2-line block ×3, first 2 shown]
	v_mul_f16_e32 v33, v20, v27
	v_mul_f16_e32 v24, v11, v24
	;; [unrolled: 1-line block ×9, first 2 shown]
	v_fma_f16 v9, v9, v12, -v28
	v_fma_f16 v11, v11, v17, -v29
	;; [unrolled: 1-line block ×4, first 2 shown]
	v_fmac_f16_e32 v24, v17, v19
	v_fmac_f16_e32 v2, v12, v18
	;; [unrolled: 1-line block ×4, first 2 shown]
	v_fma_f16 v10, v10, v15, -v30
	v_fma_f16 v7, v7, v14, -v31
	v_fmac_f16_e32 v26, v14, v22
	v_fmac_f16_e32 v25, v15, v21
	v_sub_f16_e32 v12, v9, v11
	v_sub_f16_e32 v14, v6, v8
	v_add_f16_e32 v15, v2, v24
	v_add_f16_e32 v17, v3, v27
	;; [unrolled: 1-line block ×4, first 2 shown]
	v_sub_f16_e32 v13, v10, v7
	v_add_f16_e32 v16, v25, v26
	v_add_f16_e32 v7, v10, v7
	v_sub_f16_e32 v2, v2, v24
	v_sub_f16_e32 v8, v25, v26
	;; [unrolled: 1-line block ×3, first 2 shown]
	v_add_f16_e32 v20, v15, v17
	v_add_f16_e32 v23, v9, v6
	v_sub_f16_e32 v10, v12, v13
	v_sub_f16_e32 v11, v13, v14
	v_add_f16_e32 v13, v13, v14
	v_sub_f16_e32 v18, v15, v16
	v_sub_f16_e32 v19, v16, v17
	;; [unrolled: 1-line block ×6, first 2 shown]
	v_add_f16_e32 v8, v8, v3
	v_sub_f16_e32 v14, v14, v12
	v_sub_f16_e32 v3, v3, v2
	v_add_f16_e32 v16, v16, v20
	v_add_f16_e32 v7, v7, v23
	v_sub_f16_e32 v15, v17, v15
	v_sub_f16_e32 v6, v6, v9
	v_mul_f16_e32 v9, 0xb846, v11
	v_add_f16_e32 v11, v12, v13
	v_mul_f16_e32 v12, 0x3a52, v18
	v_mul_f16_e32 v13, 0x2b26, v19
	;; [unrolled: 1-line block ×5, first 2 shown]
	v_add_f16_e32 v2, v2, v8
	v_mul_f16_e32 v8, 0x3b00, v14
	v_mul_f16_e32 v22, 0x3b00, v3
	s_wait_dscnt 0x0
	v_add_f16_e32 v5, v5, v16
	v_add_f16_e32 v4, v4, v7
	v_fmamk_f16 v23, v10, 0x3574, v9
	v_fmamk_f16 v18, v18, 0x3a52, v13
	;; [unrolled: 1-line block ×4, first 2 shown]
	v_fma_f16 v8, v10, 0xb574, -v8
	v_fma_f16 v10, v15, 0xb9e0, -v12
	;; [unrolled: 1-line block ×6, first 2 shown]
	v_fmamk_f16 v14, v16, 0xbcab, v5
	v_fmamk_f16 v7, v7, 0xbcab, v4
	v_fma_f16 v13, v15, 0x39e0, -v13
	v_fma_f16 v6, v6, 0x39e0, -v19
	v_fmac_f16_e32 v23, 0x370e, v11
	v_fmac_f16_e32 v25, 0x370e, v2
	;; [unrolled: 1-line block ×4, first 2 shown]
	v_pack_b32_f16 v2, v4, v5
	v_add_f16_e32 v4, v18, v14
	v_add_f16_e32 v5, v21, v7
	v_fmac_f16_e32 v8, 0x370e, v11
	v_fmac_f16_e32 v9, 0x370e, v11
	v_add_f16_e32 v10, v10, v14
	v_add_f16_e32 v11, v12, v7
	;; [unrolled: 1-line block ×5, first 2 shown]
	v_sub_f16_e32 v13, v5, v25
	v_sub_f16_e32 v4, v4, v23
	v_add_f16_e32 v5, v25, v5
	v_add_f16_e32 v14, v8, v10
	v_sub_f16_e32 v8, v10, v8
	v_add_f16_e32 v10, v17, v11
	v_sub_f16_e32 v15, v12, v9
	;; [unrolled: 2-line block ×4, first 2 shown]
	v_pack_b32_f16 v4, v5, v4
	v_pack_b32_f16 v5, v10, v8
	;; [unrolled: 1-line block ×6, first 2 shown]
	s_clause 0x6
	global_store_b32 v[0:1], v2, off
	global_store_b32 v[0:1], v4, off offset:728
	global_store_b32 v[0:1], v5, off offset:1456
	;; [unrolled: 1-line block ×6, first 2 shown]
.LBB0_27:
	s_nop 0
	s_sendmsg sendmsg(MSG_DEALLOC_VGPRS)
	s_endpgm
	.section	.rodata,"a",@progbits
	.p2align	6, 0x0
	.amdhsa_kernel fft_rtc_fwd_len1274_factors_2_13_7_7_wgs_182_tpt_182_halfLds_half_ip_CI_unitstride_sbrr_dirReg
		.amdhsa_group_segment_fixed_size 0
		.amdhsa_private_segment_fixed_size 0
		.amdhsa_kernarg_size 88
		.amdhsa_user_sgpr_count 2
		.amdhsa_user_sgpr_dispatch_ptr 0
		.amdhsa_user_sgpr_queue_ptr 0
		.amdhsa_user_sgpr_kernarg_segment_ptr 1
		.amdhsa_user_sgpr_dispatch_id 0
		.amdhsa_user_sgpr_private_segment_size 0
		.amdhsa_wavefront_size32 1
		.amdhsa_uses_dynamic_stack 0
		.amdhsa_enable_private_segment 0
		.amdhsa_system_sgpr_workgroup_id_x 1
		.amdhsa_system_sgpr_workgroup_id_y 0
		.amdhsa_system_sgpr_workgroup_id_z 0
		.amdhsa_system_sgpr_workgroup_info 0
		.amdhsa_system_vgpr_workitem_id 0
		.amdhsa_next_free_vgpr 70
		.amdhsa_next_free_sgpr 32
		.amdhsa_reserve_vcc 1
		.amdhsa_float_round_mode_32 0
		.amdhsa_float_round_mode_16_64 0
		.amdhsa_float_denorm_mode_32 3
		.amdhsa_float_denorm_mode_16_64 3
		.amdhsa_fp16_overflow 0
		.amdhsa_workgroup_processor_mode 1
		.amdhsa_memory_ordered 1
		.amdhsa_forward_progress 0
		.amdhsa_round_robin_scheduling 0
		.amdhsa_exception_fp_ieee_invalid_op 0
		.amdhsa_exception_fp_denorm_src 0
		.amdhsa_exception_fp_ieee_div_zero 0
		.amdhsa_exception_fp_ieee_overflow 0
		.amdhsa_exception_fp_ieee_underflow 0
		.amdhsa_exception_fp_ieee_inexact 0
		.amdhsa_exception_int_div_zero 0
	.end_amdhsa_kernel
	.text
.Lfunc_end0:
	.size	fft_rtc_fwd_len1274_factors_2_13_7_7_wgs_182_tpt_182_halfLds_half_ip_CI_unitstride_sbrr_dirReg, .Lfunc_end0-fft_rtc_fwd_len1274_factors_2_13_7_7_wgs_182_tpt_182_halfLds_half_ip_CI_unitstride_sbrr_dirReg
                                        ; -- End function
	.section	.AMDGPU.csdata,"",@progbits
; Kernel info:
; codeLenInByte = 7876
; NumSgprs: 34
; NumVgprs: 70
; ScratchSize: 0
; MemoryBound: 0
; FloatMode: 240
; IeeeMode: 1
; LDSByteSize: 0 bytes/workgroup (compile time only)
; SGPRBlocks: 4
; VGPRBlocks: 8
; NumSGPRsForWavesPerEU: 34
; NumVGPRsForWavesPerEU: 70
; Occupancy: 15
; WaveLimiterHint : 1
; COMPUTE_PGM_RSRC2:SCRATCH_EN: 0
; COMPUTE_PGM_RSRC2:USER_SGPR: 2
; COMPUTE_PGM_RSRC2:TRAP_HANDLER: 0
; COMPUTE_PGM_RSRC2:TGID_X_EN: 1
; COMPUTE_PGM_RSRC2:TGID_Y_EN: 0
; COMPUTE_PGM_RSRC2:TGID_Z_EN: 0
; COMPUTE_PGM_RSRC2:TIDIG_COMP_CNT: 0
	.text
	.p2alignl 7, 3214868480
	.fill 96, 4, 3214868480
	.type	__hip_cuid_ba26cbf78f49a17d,@object ; @__hip_cuid_ba26cbf78f49a17d
	.section	.bss,"aw",@nobits
	.globl	__hip_cuid_ba26cbf78f49a17d
__hip_cuid_ba26cbf78f49a17d:
	.byte	0                               ; 0x0
	.size	__hip_cuid_ba26cbf78f49a17d, 1

	.ident	"AMD clang version 19.0.0git (https://github.com/RadeonOpenCompute/llvm-project roc-6.4.0 25133 c7fe45cf4b819c5991fe208aaa96edf142730f1d)"
	.section	".note.GNU-stack","",@progbits
	.addrsig
	.addrsig_sym __hip_cuid_ba26cbf78f49a17d
	.amdgpu_metadata
---
amdhsa.kernels:
  - .args:
      - .actual_access:  read_only
        .address_space:  global
        .offset:         0
        .size:           8
        .value_kind:     global_buffer
      - .offset:         8
        .size:           8
        .value_kind:     by_value
      - .actual_access:  read_only
        .address_space:  global
        .offset:         16
        .size:           8
        .value_kind:     global_buffer
      - .actual_access:  read_only
        .address_space:  global
        .offset:         24
        .size:           8
        .value_kind:     global_buffer
      - .offset:         32
        .size:           8
        .value_kind:     by_value
      - .actual_access:  read_only
        .address_space:  global
        .offset:         40
        .size:           8
        .value_kind:     global_buffer
      - .actual_access:  read_only
        .address_space:  global
        .offset:         48
        .size:           8
        .value_kind:     global_buffer
      - .offset:         56
        .size:           4
        .value_kind:     by_value
      - .actual_access:  read_only
        .address_space:  global
        .offset:         64
        .size:           8
        .value_kind:     global_buffer
      - .actual_access:  read_only
        .address_space:  global
        .offset:         72
        .size:           8
        .value_kind:     global_buffer
      - .address_space:  global
        .offset:         80
        .size:           8
        .value_kind:     global_buffer
    .group_segment_fixed_size: 0
    .kernarg_segment_align: 8
    .kernarg_segment_size: 88
    .language:       OpenCL C
    .language_version:
      - 2
      - 0
    .max_flat_workgroup_size: 182
    .name:           fft_rtc_fwd_len1274_factors_2_13_7_7_wgs_182_tpt_182_halfLds_half_ip_CI_unitstride_sbrr_dirReg
    .private_segment_fixed_size: 0
    .sgpr_count:     34
    .sgpr_spill_count: 0
    .symbol:         fft_rtc_fwd_len1274_factors_2_13_7_7_wgs_182_tpt_182_halfLds_half_ip_CI_unitstride_sbrr_dirReg.kd
    .uniform_work_group_size: 1
    .uses_dynamic_stack: false
    .vgpr_count:     70
    .vgpr_spill_count: 0
    .wavefront_size: 32
    .workgroup_processor_mode: 1
amdhsa.target:   amdgcn-amd-amdhsa--gfx1201
amdhsa.version:
  - 1
  - 2
...

	.end_amdgpu_metadata
